;; amdgpu-corpus repo=ROCm/rocFFT kind=compiled arch=gfx950 opt=O3
	.text
	.amdgcn_target "amdgcn-amd-amdhsa--gfx950"
	.amdhsa_code_object_version 6
	.protected	fft_rtc_fwd_len726_factors_11_6_11_wgs_132_tpt_66_sp_ip_CI_sbrr_dirReg ; -- Begin function fft_rtc_fwd_len726_factors_11_6_11_wgs_132_tpt_66_sp_ip_CI_sbrr_dirReg
	.globl	fft_rtc_fwd_len726_factors_11_6_11_wgs_132_tpt_66_sp_ip_CI_sbrr_dirReg
	.p2align	8
	.type	fft_rtc_fwd_len726_factors_11_6_11_wgs_132_tpt_66_sp_ip_CI_sbrr_dirReg,@function
fft_rtc_fwd_len726_factors_11_6_11_wgs_132_tpt_66_sp_ip_CI_sbrr_dirReg: ; @fft_rtc_fwd_len726_factors_11_6_11_wgs_132_tpt_66_sp_ip_CI_sbrr_dirReg
; %bb.0:
	s_load_dwordx2 s[12:13], s[0:1], 0x18
	s_load_dwordx4 s[4:7], s[0:1], 0x0
	s_load_dwordx2 s[10:11], s[0:1], 0x50
	v_mul_u32_u24_e32 v1, 0x3e1, v0
	v_lshrrev_b32_e32 v55, 16, v1
	s_waitcnt lgkmcnt(0)
	s_load_dwordx2 s[8:9], s[12:13], 0x0
	v_lshl_add_u32 v6, s2, 1, v55
	v_mov_b32_e32 v4, 0
	v_cmp_lt_u64_e64 s[2:3], s[6:7], 2
	v_mov_b32_e32 v7, v4
	s_and_b64 vcc, exec, s[2:3]
	v_mov_b64_e32 v[2:3], 0
	s_cbranch_vccnz .LBB0_8
; %bb.1:
	s_load_dwordx2 s[2:3], s[0:1], 0x10
	s_add_u32 s14, s12, 8
	s_addc_u32 s15, s13, 0
	s_mov_b64 s[16:17], 1
	v_mov_b64_e32 v[2:3], 0
	s_waitcnt lgkmcnt(0)
	s_add_u32 s18, s2, 8
	s_addc_u32 s19, s3, 0
.LBB0_2:                                ; =>This Inner Loop Header: Depth=1
	s_load_dwordx2 s[20:21], s[18:19], 0x0
                                        ; implicit-def: $vgpr8_vgpr9
	s_waitcnt lgkmcnt(0)
	v_or_b32_e32 v5, s21, v7
	v_cmp_ne_u64_e32 vcc, 0, v[4:5]
	s_and_saveexec_b64 s[2:3], vcc
	s_xor_b64 s[22:23], exec, s[2:3]
	s_cbranch_execz .LBB0_4
; %bb.3:                                ;   in Loop: Header=BB0_2 Depth=1
	v_cvt_f32_u32_e32 v1, s20
	v_cvt_f32_u32_e32 v5, s21
	s_sub_u32 s2, 0, s20
	s_subb_u32 s3, 0, s21
	v_fmac_f32_e32 v1, 0x4f800000, v5
	v_rcp_f32_e32 v1, v1
	s_nop 0
	v_mul_f32_e32 v1, 0x5f7ffffc, v1
	v_mul_f32_e32 v5, 0x2f800000, v1
	v_trunc_f32_e32 v5, v5
	v_fmac_f32_e32 v1, 0xcf800000, v5
	v_cvt_u32_f32_e32 v5, v5
	v_cvt_u32_f32_e32 v1, v1
	v_mul_lo_u32 v8, s2, v5
	v_mul_hi_u32 v10, s2, v1
	v_mul_lo_u32 v9, s3, v1
	v_add_u32_e32 v10, v10, v8
	v_mul_lo_u32 v12, s2, v1
	v_add_u32_e32 v13, v10, v9
	v_mul_hi_u32 v8, v1, v12
	v_mul_hi_u32 v11, v1, v13
	v_mul_lo_u32 v10, v1, v13
	v_mov_b32_e32 v9, v4
	v_lshl_add_u64 v[8:9], v[8:9], 0, v[10:11]
	v_mul_hi_u32 v11, v5, v12
	v_mul_lo_u32 v12, v5, v12
	v_add_co_u32_e32 v8, vcc, v8, v12
	v_mul_hi_u32 v10, v5, v13
	s_nop 0
	v_addc_co_u32_e32 v8, vcc, v9, v11, vcc
	v_mov_b32_e32 v9, v4
	s_nop 0
	v_addc_co_u32_e32 v11, vcc, 0, v10, vcc
	v_mul_lo_u32 v10, v5, v13
	v_lshl_add_u64 v[8:9], v[8:9], 0, v[10:11]
	v_add_co_u32_e32 v1, vcc, v1, v8
	v_mul_lo_u32 v10, s2, v1
	s_nop 0
	v_addc_co_u32_e32 v5, vcc, v5, v9, vcc
	v_mul_lo_u32 v8, s2, v5
	v_mul_hi_u32 v9, s2, v1
	v_add_u32_e32 v8, v9, v8
	v_mul_lo_u32 v9, s3, v1
	v_add_u32_e32 v12, v8, v9
	v_mul_hi_u32 v14, v5, v10
	v_mul_lo_u32 v15, v5, v10
	v_mul_hi_u32 v9, v1, v12
	v_mul_lo_u32 v8, v1, v12
	v_mul_hi_u32 v10, v1, v10
	v_mov_b32_e32 v11, v4
	v_lshl_add_u64 v[8:9], v[10:11], 0, v[8:9]
	v_add_co_u32_e32 v8, vcc, v8, v15
	v_mul_hi_u32 v13, v5, v12
	s_nop 0
	v_addc_co_u32_e32 v8, vcc, v9, v14, vcc
	v_mul_lo_u32 v10, v5, v12
	s_nop 0
	v_addc_co_u32_e32 v11, vcc, 0, v13, vcc
	v_mov_b32_e32 v9, v4
	v_lshl_add_u64 v[8:9], v[8:9], 0, v[10:11]
	v_add_co_u32_e32 v1, vcc, v1, v8
	v_mul_hi_u32 v10, v6, v1
	s_nop 0
	v_addc_co_u32_e32 v5, vcc, v5, v9, vcc
	v_mad_u64_u32 v[8:9], s[2:3], v6, v5, 0
	v_mov_b32_e32 v11, v4
	v_lshl_add_u64 v[8:9], v[10:11], 0, v[8:9]
	v_mad_u64_u32 v[12:13], s[2:3], v7, v1, 0
	v_add_co_u32_e32 v1, vcc, v8, v12
	v_mad_u64_u32 v[10:11], s[2:3], v7, v5, 0
	s_nop 0
	v_addc_co_u32_e32 v8, vcc, v9, v13, vcc
	v_mov_b32_e32 v9, v4
	s_nop 0
	v_addc_co_u32_e32 v11, vcc, 0, v11, vcc
	v_lshl_add_u64 v[8:9], v[8:9], 0, v[10:11]
	v_mul_lo_u32 v1, s21, v8
	v_mul_lo_u32 v5, s20, v9
	v_mad_u64_u32 v[10:11], s[2:3], s20, v8, 0
	v_add3_u32 v1, v11, v5, v1
	v_sub_u32_e32 v5, v7, v1
	v_mov_b32_e32 v11, s21
	v_sub_co_u32_e32 v14, vcc, v6, v10
	v_lshl_add_u64 v[12:13], v[8:9], 0, 1
	s_nop 0
	v_subb_co_u32_e64 v5, s[2:3], v5, v11, vcc
	v_subrev_co_u32_e64 v10, s[2:3], s20, v14
	v_subb_co_u32_e32 v1, vcc, v7, v1, vcc
	s_nop 0
	v_subbrev_co_u32_e64 v5, s[2:3], 0, v5, s[2:3]
	v_cmp_le_u32_e64 s[2:3], s21, v5
	v_cmp_le_u32_e32 vcc, s21, v1
	s_nop 0
	v_cndmask_b32_e64 v11, 0, -1, s[2:3]
	v_cmp_le_u32_e64 s[2:3], s20, v10
	s_nop 1
	v_cndmask_b32_e64 v10, 0, -1, s[2:3]
	v_cmp_eq_u32_e64 s[2:3], s21, v5
	s_nop 1
	v_cndmask_b32_e64 v5, v11, v10, s[2:3]
	v_lshl_add_u64 v[10:11], v[8:9], 0, 2
	v_cmp_ne_u32_e64 s[2:3], 0, v5
	s_nop 1
	v_cndmask_b32_e64 v5, v13, v11, s[2:3]
	v_cndmask_b32_e64 v11, 0, -1, vcc
	v_cmp_le_u32_e32 vcc, s20, v14
	s_nop 1
	v_cndmask_b32_e64 v13, 0, -1, vcc
	v_cmp_eq_u32_e32 vcc, s21, v1
	s_nop 1
	v_cndmask_b32_e32 v1, v11, v13, vcc
	v_cmp_ne_u32_e32 vcc, 0, v1
	v_cndmask_b32_e64 v1, v12, v10, s[2:3]
	s_nop 0
	v_cndmask_b32_e32 v9, v9, v5, vcc
	v_cndmask_b32_e32 v8, v8, v1, vcc
.LBB0_4:                                ;   in Loop: Header=BB0_2 Depth=1
	s_andn2_saveexec_b64 s[2:3], s[22:23]
	s_cbranch_execz .LBB0_6
; %bb.5:                                ;   in Loop: Header=BB0_2 Depth=1
	v_cvt_f32_u32_e32 v1, s20
	s_sub_i32 s22, 0, s20
	v_rcp_iflag_f32_e32 v1, v1
	s_nop 0
	v_mul_f32_e32 v1, 0x4f7ffffe, v1
	v_cvt_u32_f32_e32 v1, v1
	v_mul_lo_u32 v5, s22, v1
	v_mul_hi_u32 v5, v1, v5
	v_add_u32_e32 v1, v1, v5
	v_mul_hi_u32 v1, v6, v1
	v_mul_lo_u32 v5, v1, s20
	v_sub_u32_e32 v5, v6, v5
	v_add_u32_e32 v8, 1, v1
	v_subrev_u32_e32 v9, s20, v5
	v_cmp_le_u32_e32 vcc, s20, v5
	s_nop 1
	v_cndmask_b32_e32 v5, v5, v9, vcc
	v_cndmask_b32_e32 v1, v1, v8, vcc
	v_add_u32_e32 v8, 1, v1
	v_cmp_le_u32_e32 vcc, s20, v5
	v_mov_b32_e32 v9, v4
	s_nop 0
	v_cndmask_b32_e32 v8, v1, v8, vcc
.LBB0_6:                                ;   in Loop: Header=BB0_2 Depth=1
	s_or_b64 exec, exec, s[2:3]
	v_mad_u64_u32 v[10:11], s[2:3], v8, s20, 0
	s_load_dwordx2 s[2:3], s[14:15], 0x0
	v_mul_lo_u32 v1, v9, s20
	v_mul_lo_u32 v5, v8, s21
	v_add3_u32 v1, v11, v5, v1
	v_sub_co_u32_e32 v5, vcc, v6, v10
	s_add_u32 s16, s16, 1
	s_nop 0
	v_subb_co_u32_e32 v1, vcc, v7, v1, vcc
	s_addc_u32 s17, s17, 0
	s_waitcnt lgkmcnt(0)
	v_mul_lo_u32 v1, s2, v1
	v_mul_lo_u32 v6, s3, v5
	v_mad_u64_u32 v[2:3], s[2:3], s2, v5, v[2:3]
	s_add_u32 s14, s14, 8
	v_add3_u32 v3, v6, v3, v1
	s_addc_u32 s15, s15, 0
	v_mov_b64_e32 v[6:7], s[6:7]
	s_add_u32 s18, s18, 8
	v_cmp_ge_u64_e32 vcc, s[16:17], v[6:7]
	s_addc_u32 s19, s19, 0
	s_cbranch_vccnz .LBB0_9
; %bb.7:                                ;   in Loop: Header=BB0_2 Depth=1
	v_mov_b64_e32 v[6:7], v[8:9]
	s_branch .LBB0_2
.LBB0_8:
	v_mov_b64_e32 v[8:9], v[6:7]
.LBB0_9:
	s_lshl_b64 s[2:3], s[6:7], 3
	s_add_u32 s2, s12, s2
	s_addc_u32 s3, s13, s3
	s_load_dwordx2 s[6:7], s[2:3], 0x0
	s_load_dwordx2 s[12:13], s[0:1], 0x20
	s_mov_b32 s2, 0x3e0f83f
                                        ; implicit-def: $vgpr54
	s_waitcnt lgkmcnt(0)
	v_mul_lo_u32 v1, s6, v9
	v_mul_lo_u32 v6, s7, v8
	v_mad_u64_u32 v[4:5], s[0:1], s6, v8, v[2:3]
	v_add3_u32 v5, v6, v5, v1
	v_mul_hi_u32 v1, v0, s2
	v_mul_u32_u24_e32 v1, 0x42, v1
	v_cmp_gt_u64_e32 vcc, s[12:13], v[8:9]
	v_cmp_le_u64_e64 s[0:1], s[12:13], v[8:9]
	v_sub_u32_e32 v53, v0, v1
                                        ; implicit-def: $sgpr2_sgpr3
                                        ; implicit-def: $sgpr6
	s_and_saveexec_b64 s[12:13], s[0:1]
	s_xor_b64 s[0:1], exec, s[12:13]
; %bb.10:
	v_add_u32_e32 v54, 0x42, v53
	s_mov_b32 s6, 0
	s_mov_b64 s[2:3], 0
; %bb.11:
	s_or_saveexec_b64 s[0:1], s[0:1]
	v_mov_b32_e32 v52, s6
	v_mov_b64_e32 v[2:3], s[2:3]
	v_lshl_add_u64 v[12:13], v[4:5], 3, s[10:11]
                                        ; implicit-def: $vgpr26
                                        ; implicit-def: $vgpr28
                                        ; implicit-def: $vgpr30
                                        ; implicit-def: $vgpr34
                                        ; implicit-def: $vgpr36
                                        ; implicit-def: $vgpr38
                                        ; implicit-def: $vgpr40
                                        ; implicit-def: $vgpr44
                                        ; implicit-def: $vgpr46
                                        ; implicit-def: $vgpr48
	s_xor_b64 exec, exec, s[0:1]
	s_cbranch_execz .LBB0_13
; %bb.12:
	v_mad_u64_u32 v[0:1], s[2:3], s8, v53, 0
	v_mov_b32_e32 v2, v1
	v_mad_u64_u32 v[2:3], s[2:3], s9, v53, v[2:3]
	v_add_u32_e32 v54, 0x42, v53
	v_mov_b32_e32 v1, v2
	v_mad_u64_u32 v[2:3], s[2:3], s8, v54, 0
	v_mov_b32_e32 v4, v3
	v_mad_u64_u32 v[4:5], s[2:3], s9, v54, v[4:5]
	v_mov_b32_e32 v3, v4
	v_add_u32_e32 v7, 0x84, v53
	v_lshl_add_u64 v[4:5], v[2:3], 3, v[12:13]
	v_mad_u64_u32 v[2:3], s[2:3], s8, v7, 0
	v_mov_b32_e32 v6, v3
	v_mad_u64_u32 v[6:7], s[2:3], s9, v7, v[6:7]
	v_mov_b32_e32 v3, v6
	v_add_u32_e32 v9, 0xc6, v53
	v_lshl_add_u64 v[6:7], v[2:3], 3, v[12:13]
	;; [unrolled: 6-line block ×9, first 2 shown]
	v_mad_u64_u32 v[2:3], s[2:3], s8, v25, 0
	v_mov_b32_e32 v24, v3
	v_mad_u64_u32 v[24:25], s[2:3], s9, v25, v[24:25]
	v_lshl_add_u64 v[0:1], v[0:1], 3, v[12:13]
	v_mov_b32_e32 v3, v24
	v_lshl_add_u64 v[24:25], v[2:3], 3, v[12:13]
	global_load_dwordx2 v[2:3], v[0:1], off
	global_load_dwordx2 v[48:49], v[4:5], off
	;; [unrolled: 1-line block ×11, first 2 shown]
	v_mov_b32_e32 v52, v53
.LBB0_13:
	s_or_b64 exec, exec, s[0:1]
	s_waitcnt vmcnt(0)
	v_pk_add_f32 v[4:5], v[48:49], v[26:27] neg_lo:[0,1] neg_hi:[0,1]
	v_pk_add_f32 v[42:43], v[48:49], v[26:27]
	v_pk_add_f32 v[48:49], v[48:49], v[2:3]
	v_pk_add_f32 v[16:17], v[44:45], v[30:31] neg_lo:[0,1] neg_hi:[0,1]
	v_pk_add_f32 v[48:49], v[46:47], v[48:49]
	v_pk_add_f32 v[56:57], v[44:45], v[30:31]
	;; [unrolled: 1-line block ×3, first 2 shown]
	s_mov_b32 s6, 0xbf7d64f0
	v_pk_add_f32 v[14:15], v[46:47], v[28:29] neg_lo:[0,1] neg_hi:[0,1]
	v_pk_add_f32 v[22:23], v[46:47], v[28:29]
	v_pk_add_f32 v[24:25], v[40:41], v[34:35] neg_lo:[0,1] neg_hi:[0,1]
	v_pk_add_f32 v[46:47], v[40:41], v[34:35]
	v_pk_add_f32 v[40:41], v[40:41], v[44:45]
	s_mov_b32 s7, 0xbe11bafb
	v_pk_add_f32 v[48:49], v[38:39], v[36:37] neg_lo:[0,1] neg_hi:[0,1]
	v_pk_add_f32 v[44:45], v[38:39], v[36:37]
	v_pk_add_f32 v[38:39], v[38:39], v[40:41]
	v_mov_b32_e32 v58, v56
	v_mov_b32_e32 v59, v22
	s_mov_b32 s14, 0x3f575c64
	s_mov_b32 s15, s7
	v_pk_add_f32 v[36:37], v[36:37], v[38:39]
	v_mov_b32_e32 v32, v17
	v_mov_b32_e32 v33, v15
	;; [unrolled: 1-line block ×4, first 2 shown]
	v_pk_mul_f32 v[8:9], v[58:59], s[14:15]
	s_mov_b32 s17, 0x3f7d64f0
	s_mov_b32 s16, 0xbf0a6770
	v_pk_add_f32 v[34:35], v[34:35], v[36:37]
	v_mov_b32_e32 v10, v5
	v_mov_b32_e32 v11, v43
	s_mov_b32 s10, 0xbf68dda4
	v_pk_fma_f32 v[18:19], v[32:33], s[16:17], v[8:9] neg_lo:[1,0,0] neg_hi:[1,0,0]
	v_pk_fma_f32 v[8:9], v[32:33], s[16:17], v[8:9]
	v_pk_mul_f32 v[50:51], v[60:61], s[16:17]
	s_mov_b32 s25, s17
	s_mov_b32 s17, s14
	v_pk_add_f32 v[30:31], v[30:31], v[34:35]
	v_mov_b32_e32 v0, v42
	v_mov_b32_e32 v1, v4
	s_mov_b32 s11, 0x3ed4b147
	v_mov_b32_e32 v20, v15
	v_mov_b32_e32 v21, v23
	v_pk_mul_f32 v[40:41], v[10:11], s[16:17]
	s_mov_b32 s20, s14
	s_mov_b32 s21, s16
	v_pk_add_f32 v[28:29], v[28:29], v[30:31]
	s_mov_b32 s12, s11
	s_mov_b32 s13, s10
	v_mov_b32_e32 v6, v22
	v_mov_b32_e32 v7, v14
	v_pk_fma_f32 v[38:39], v[0:1], s[20:21], v[40:41]
	v_pk_mul_f32 v[36:37], v[20:21], s[10:11]
	v_pk_add_f32 v[30:31], v[26:27], v[28:29]
	v_pk_fma_f32 v[26:27], v[0:1], s[20:21], v[40:41] neg_lo:[0,0,1] neg_hi:[0,0,1]
	v_pk_fma_f32 v[34:35], v[6:7], s[12:13], v[36:37]
	v_mov_b32_e32 v27, v39
	v_pk_fma_f32 v[28:29], v[6:7], s[12:13], v[36:37] neg_lo:[0,0,1] neg_hi:[0,0,1]
	v_mov_b32_e32 v62, v56
	v_mov_b32_e32 v56, v17
	s_mov_b32 s2, s7
	s_mov_b32 s3, s6
	v_mov_b32_e32 v29, v35
	v_pk_add_f32 v[26:27], v[26:27], v[2:3]
	v_mov_b32_e32 v63, v16
	v_pk_mul_f32 v[64:65], v[56:57], s[6:7]
	s_mov_b32 s28, 0xbf4178ce
	v_pk_add_f32 v[26:27], v[28:29], v[26:27]
	v_pk_fma_f32 v[66:67], v[62:63], s[2:3], v[64:65]
	v_pk_fma_f32 v[28:29], v[62:63], s[2:3], v[64:65] neg_lo:[0,0,1] neg_hi:[0,0,1]
	s_mov_b32 s29, 0xbf27a4f4
	v_mov_b32_e32 v70, v25
	v_mov_b32_e32 v71, v47
	;; [unrolled: 1-line block ×3, first 2 shown]
	s_mov_b32 s18, s29
	s_mov_b32 s19, s28
	v_mov_b32_e32 v68, v46
	v_mov_b32_e32 v69, v24
	v_pk_mul_f32 v[72:73], v[70:71], s[28:29]
	v_pk_add_f32 v[26:27], v[28:29], v[26:27]
	v_pk_fma_f32 v[74:75], v[68:69], s[18:19], v[72:73]
	v_pk_fma_f32 v[28:29], v[68:69], s[18:19], v[72:73] neg_lo:[0,0,1] neg_hi:[0,0,1]
	s_mov_b32 s22, 0xbf75a155
	v_mov_b32_e32 v29, v75
	s_mov_b32 s34, 0x3e903f40
	s_mov_b32 s26, s11
	;; [unrolled: 1-line block ×3, first 2 shown]
	v_pk_add_f32 v[76:77], v[28:29], v[26:27]
	s_mov_b32 s23, s29
	s_mov_b32 s35, s28
	v_pk_mul_f32 v[28:29], v[58:59], s[26:27]
	s_mov_b32 s30, 0x3f68dda4
	s_mov_b32 s31, s34
	v_pk_mul_f32 v[26:27], v[60:61], s[34:35]
	v_pk_mul_f32 v[80:81], v[58:59], s[22:23]
	v_pk_fma_f32 v[58:59], v[32:33], s[30:31], v[28:29] neg_lo:[1,0,0] neg_hi:[1,0,0]
	v_pk_fma_f32 v[28:29], v[32:33], s[30:31], v[28:29]
	v_pk_mul_f32 v[60:61], v[60:61], s[30:31]
	s_mov_b32 s31, 0xbe903f40
	v_mov_b32_e32 v22, v57
	v_mov_b32_e32 v84, v49
	;; [unrolled: 1-line block ×3, first 2 shown]
	s_mov_b32 s36, s31
	s_mov_b32 s37, s22
	v_and_b32_e32 v35, 1, v55
	v_pk_fma_f32 v[78:79], v[22:23], s[22:23], v[26:27]
	v_pk_fma_f32 v[26:27], v[22:23], s[22:23], v[26:27] neg_lo:[0,0,1] neg_hi:[0,0,1]
	v_mov_b32_e32 v82, v44
	v_mov_b32_e32 v83, v48
	s_mov_b32 s23, s31
	v_pk_mul_f32 v[86:87], v[84:85], s[36:37]
	v_mov_b32_e32 v39, 0x2d6
	v_cmp_eq_u32_e64 s[0:1], 1, v35
	v_pk_fma_f32 v[88:89], v[82:83], s[22:23], v[86:87]
	v_pk_fma_f32 v[90:91], v[82:83], s[22:23], v[86:87] neg_lo:[0,0,1] neg_hi:[0,0,1]
	v_cndmask_b32_e64 v55, 0, v39, s[0:1]
	v_mov_b32_e32 v91, v89
	s_movk_i32 s0, 0x58
	v_lshl_add_u32 v67, v55, 3, 0
	v_pk_add_f32 v[76:77], v[90:91], v[76:77]
	v_mad_u32_u24 v75, v53, s0, v67
	ds_write2_b64 v75, v[30:31], v[76:77] offset1:1
	v_mov_b32_e32 v31, v46
	v_mov_b32_e32 v46, v45
	;; [unrolled: 1-line block ×5, first 2 shown]
	s_mov_b32 s24, 0x3f0a6770
	v_mov_b32_e32 v44, v48
	v_mov_b32_e32 v45, v24
	v_pk_mul_f32 v[76:77], v[46:47], s[14:15]
	v_pk_mul_f32 v[94:95], v[92:93], s[10:11]
	v_mov_b32_e32 v35, v76
	v_pk_mul_f32 v[76:77], v[44:45], s[24:25]
	v_mov_b32_e32 v42, v95
	v_mov_b32_e32 v94, v43
	;; [unrolled: 1-line block ×4, first 2 shown]
	v_pk_mul_f32 v[96:97], v[94:95], s[12:13]
	v_pk_add_f32 v[90:91], v[34:35], v[38:39]
	v_mov_b32_e32 v35, v96
	v_pk_fma_f32 v[96:97], v[92:93], s[10:11], v[42:43] neg_lo:[1,0,0] neg_hi:[1,0,0]
	v_pk_fma_f32 v[98:99], v[94:95], s[12:13], v[34:35]
	v_mov_b32_e32 v101, v79
	v_mov_b32_e32 v97, v99
	v_pk_fma_f32 v[98:99], v[32:33], s[34:35], v[80:81] neg_lo:[1,0,0] neg_hi:[1,0,0]
	v_pk_add_f32 v[96:97], v[96:97], v[2:3]
	v_mov_b32_e32 v100, v99
	v_pk_add_f32 v[96:97], v[100:101], v[96:97]
	v_mov_b32_e32 v99, v78
	;; [unrolled: 2-line block ×3, first 2 shown]
	v_mov_b32_e32 v97, v25
	v_pk_mul_f32 v[98:99], v[30:31], s[14:15]
	v_pk_fma_f32 v[102:103], v[46:47], s[14:15], v[76:77]
	v_pk_fma_f32 v[100:101], v[96:97], s[24:25], v[98:99] neg_lo:[1,0,0] neg_hi:[1,0,0]
	s_mov_b32 s0, s29
	v_mov_b32_e32 v102, v101
	v_mov_b32_e32 v90, v100
	v_pk_add_f32 v[78:79], v[102:103], v[78:79]
	s_mov_b32 s1, s14
	v_pk_add_f32 v[78:79], v[90:91], v[78:79]
	s_mov_b32 s38, s28
	s_mov_b32 s39, s16
	v_pk_mul_f32 v[90:91], v[46:47], s[0:1]
	v_pk_mul_f32 v[102:103], v[92:93], s[6:7]
	v_mov_b32_e32 v39, v90
	v_pk_mul_f32 v[90:91], v[44:45], s[38:39]
	v_pk_mul_f32 v[104:105], v[94:95], s[2:3]
	v_mov_b32_e32 v43, v90
	v_pk_add_f32 v[100:101], v[38:39], v[42:43]
	v_mov_b32_e32 v102, v103
	v_mov_b32_e32 v39, v104
	v_pk_fma_f32 v[104:105], v[92:93], s[6:7], v[102:103] neg_lo:[1,0,0] neg_hi:[1,0,0]
	v_pk_fma_f32 v[106:107], v[94:95], s[2:3], v[38:39]
	v_mov_b32_e32 v108, v59
	v_mov_b32_e32 v105, v107
	v_pk_fma_f32 v[106:107], v[22:23], s[26:27], v[60:61]
	v_pk_add_f32 v[104:105], v[104:105], v[2:3]
	v_mov_b32_e32 v109, v107
	v_pk_add_f32 v[104:105], v[108:109], v[104:105]
	v_mov_b32_e32 v59, v106
	v_pk_add_f32 v[58:59], v[58:59], v[104:105]
	v_pk_mul_f32 v[104:105], v[30:31], s[0:1]
	v_pk_fma_f32 v[108:109], v[46:47], s[0:1], v[90:91]
	v_pk_fma_f32 v[106:107], v[96:97], s[38:39], v[104:105] neg_lo:[1,0,0] neg_hi:[1,0,0]
	v_pk_fma_f32 v[32:33], v[32:33], s[34:35], v[80:81]
	v_mov_b32_e32 v108, v107
	v_mov_b32_e32 v100, v106
	v_pk_add_f32 v[58:59], v[108:109], v[58:59]
	v_pk_fma_f32 v[60:61], v[22:23], s[26:27], v[60:61] neg_lo:[0,0,1] neg_hi:[0,0,1]
	v_pk_add_f32 v[58:59], v[100:101], v[58:59]
	v_pk_fma_f32 v[80:81], v[22:23], s[14:15], v[50:51]
	v_pk_fma_f32 v[22:23], v[22:23], s[14:15], v[50:51] neg_lo:[0,0,1] neg_hi:[0,0,1]
	v_pk_fma_f32 v[50:51], v[96:97], s[24:25], v[98:99]
	v_pk_mul_f32 v[30:31], v[30:31], s[26:27]
	v_pk_mul_f32 v[10:11], v[10:11], s[36:37]
	s_mov_b32 s25, s14
	ds_write2_b64 v75, v[78:79], v[58:59] offset0:2 offset1:3
	v_pk_mul_f32 v[78:79], v[92:93], s[28:29]
	v_pk_fma_f32 v[98:99], v[96:97], s[38:39], v[104:105]
	v_pk_fma_f32 v[104:105], v[96:97], s[30:31], v[30:31] neg_lo:[1,0,0] neg_hi:[1,0,0]
	v_pk_fma_f32 v[30:31], v[96:97], s[30:31], v[30:31]
	v_pk_fma_f32 v[76:77], v[46:47], s[14:15], v[76:77] neg_lo:[0,0,1] neg_hi:[0,0,1]
	;; [unrolled: 2-line block ×3, first 2 shown]
	v_pk_mul_f32 v[20:21], v[20:21], s[24:25]
	s_mov_b32 s15, s24
	v_pk_fma_f32 v[0:1], v[0:1], s[22:23], v[10:11] neg_lo:[0,0,1] neg_hi:[0,0,1]
	v_mov_b32_e32 v78, v79
	v_pk_mul_f32 v[106:107], v[94:95], s[18:19]
	v_mov_b32_e32 v108, v96
	v_pk_fma_f32 v[110:111], v[6:7], s[14:15], v[20:21]
	v_pk_fma_f32 v[112:113], v[6:7], s[14:15], v[20:21] neg_lo:[1,0,0] neg_hi:[1,0,0]
	v_pk_fma_f32 v[4:5], v[4:5], s[20:21], v[40:41] op_sel_hi:[0,1,1] neg_lo:[1,0,0] neg_hi:[1,0,0]
	v_mov_b32_e32 v1, v97
	v_pk_fma_f32 v[6:7], v[6:7], s[14:15], v[20:21] neg_lo:[0,0,1] neg_hi:[0,0,1]
	v_pk_fma_f32 v[42:43], v[92:93], s[10:11], v[42:43]
	v_pk_fma_f32 v[58:59], v[92:93], s[6:7], v[102:103]
	v_pk_fma_f32 v[100:101], v[92:93], s[28:29], v[78:79] neg_lo:[1,0,0] neg_hi:[1,0,0]
	v_pk_fma_f32 v[78:79], v[92:93], s[28:29], v[78:79]
	v_pk_fma_f32 v[92:93], v[94:95], s[12:13], v[34:35] neg_lo:[1,0,0] neg_hi:[1,0,0]
	v_mov_b32_e32 v35, v106
	v_pk_add_f32 v[108:109], v[108:109], v[2:3]
	v_mov_b32_e32 v112, v110
	v_pk_mul_f32 v[56:57], v[56:57], s[28:29]
	v_mov_b32_e32 v4, v38
	v_pk_fma_f32 v[14:15], v[14:15], s[12:13], v[36:37] op_sel_hi:[0,1,1] neg_lo:[1,0,0] neg_hi:[1,0,0]
	v_mov_b32_e32 v7, v111
	v_pk_add_f32 v[0:1], v[0:1], v[2:3]
	v_pk_fma_f32 v[106:107], v[94:95], s[18:19], v[34:35]
	v_pk_add_f32 v[108:109], v[112:113], v[108:109]
	v_pk_fma_f32 v[112:113], v[62:63], s[18:19], v[56:57]
	v_pk_fma_f32 v[114:115], v[62:63], s[18:19], v[56:57] neg_lo:[1,0,0] neg_hi:[1,0,0]
	v_pk_mul_f32 v[44:45], v[44:45], s[30:31]
	s_mov_b32 s31, s11
	v_mov_b32_e32 v14, v34
	v_pk_fma_f32 v[16:17], v[16:17], s[2:3], v[64:65] op_sel_hi:[0,1,1] neg_lo:[1,0,0] neg_hi:[1,0,0]
	v_pk_add_f32 v[4:5], v[4:5], v[2:3]
	v_pk_add_f32 v[0:1], v[6:7], v[0:1]
	v_pk_fma_f32 v[6:7], v[62:63], s[18:19], v[56:57] neg_lo:[0,0,1] neg_hi:[0,0,1]
	v_mov_b32_e32 v114, v112
	v_pk_mul_f32 v[70:71], v[70:71], s[30:31]
	s_mov_b32 s10, s11
	s_mov_b32 s11, s30
	v_mov_b32_e32 v16, v66
	v_pk_fma_f32 v[24:25], v[24:25], s[18:19], v[72:73] op_sel_hi:[0,1,1] neg_lo:[1,0,0] neg_hi:[1,0,0]
	v_pk_add_f32 v[4:5], v[14:15], v[4:5]
	v_mov_b32_e32 v101, v107
	v_mov_b32_e32 v7, v113
	v_pk_fma_f32 v[102:103], v[94:95], s[2:3], v[38:39] neg_lo:[1,0,0] neg_hi:[1,0,0]
	v_pk_fma_f32 v[94:95], v[94:95], s[18:19], v[34:35] neg_lo:[1,0,0] neg_hi:[1,0,0]
	v_pk_add_f32 v[108:109], v[114:115], v[108:109]
	v_pk_fma_f32 v[114:115], v[68:69], s[10:11], v[70:71]
	v_mov_b32_e32 v24, v74
	v_pk_fma_f32 v[34:35], v[48:49], s[22:23], v[86:87] op_sel_hi:[0,1,1] neg_lo:[1,0,0] neg_hi:[1,0,0]
	v_pk_add_f32 v[4:5], v[16:17], v[4:5]
	v_pk_fma_f32 v[36:37], v[46:47], s[0:1], v[90:91] neg_lo:[0,0,1] neg_hi:[0,0,1]
	v_pk_mul_f32 v[38:39], v[46:47], s[26:27]
	v_pk_fma_f32 v[40:41], v[46:47], s[26:27], v[44:45]
	v_pk_fma_f32 v[46:47], v[46:47], s[26:27], v[44:45] neg_lo:[0,0,1] neg_hi:[0,0,1]
	v_mov_b32_e32 v43, v44
	v_pk_add_f32 v[44:45], v[100:101], v[2:3]
	v_mov_b32_e32 v48, v19
	v_mov_b32_e32 v49, v81
	v_pk_add_f32 v[0:1], v[6:7], v[0:1]
	v_pk_fma_f32 v[6:7], v[68:69], s[10:11], v[70:71] neg_lo:[0,0,1] neg_hi:[0,0,1]
	v_mov_b32_e32 v34, v88
	v_pk_add_f32 v[4:5], v[24:25], v[4:5]
	v_pk_mul_f32 v[16:17], v[84:85], s[6:7]
	v_mov_b32_e32 v39, v38
	v_pk_add_f32 v[44:45], v[48:49], v[44:45]
	v_mov_b32_e32 v19, v80
	v_mov_b32_e32 v7, v115
	v_pk_fma_f32 v[24:25], v[82:83], s[2:3], v[16:17]
	v_pk_add_f32 v[38:39], v[38:39], v[42:43]
	v_pk_add_f32 v[18:19], v[18:19], v[44:45]
	v_mov_b32_e32 v40, v105
	v_pk_add_f32 v[6:7], v[6:7], v[0:1]
	v_pk_add_f32 v[0:1], v[34:35], v[4:5]
	v_pk_fma_f32 v[4:5], v[82:83], s[2:3], v[16:17] neg_lo:[0,0,1] neg_hi:[0,0,1]
	v_mov_b32_e32 v38, v104
	v_pk_add_f32 v[18:19], v[40:41], v[18:19]
	v_mov_b32_e32 v5, v25
	v_pk_add_f32 v[18:19], v[38:39], v[18:19]
	v_pk_add_f32 v[4:5], v[4:5], v[6:7]
	v_mov_b32_e32 v79, v95
	ds_write2_b64 v75, v[18:19], v[4:5] offset0:4 offset1:5
	v_pk_add_f32 v[4:5], v[78:79], v[2:3]
	v_mov_b32_e32 v6, v9
	v_mov_b32_e32 v7, v23
	v_pk_add_f32 v[4:5], v[6:7], v[4:5]
	v_mov_b32_e32 v9, v22
	v_pk_add_f32 v[4:5], v[8:9], v[4:5]
	v_mov_b32_e32 v6, v31
	v_mov_b32_e32 v7, v47
	v_pk_add_f32 v[4:5], v[6:7], v[4:5]
	v_mov_b32_e32 v31, v46
	v_mov_b32_e32 v59, v103
	v_pk_fma_f32 v[14:15], v[82:83], s[2:3], v[16:17] neg_lo:[1,0,0] neg_hi:[1,0,0]
	v_pk_add_f32 v[16:17], v[30:31], v[4:5]
	v_pk_add_f32 v[4:5], v[58:59], v[2:3]
	v_mov_b32_e32 v6, v29
	v_mov_b32_e32 v7, v61
	v_pk_add_f32 v[4:5], v[6:7], v[4:5]
	v_mov_b32_e32 v29, v60
	v_pk_add_f32 v[4:5], v[28:29], v[4:5]
	v_mov_b32_e32 v6, v99
	v_mov_b32_e32 v7, v37
	v_pk_add_f32 v[4:5], v[6:7], v[4:5]
	v_mov_b32_e32 v99, v36
	v_mov_b32_e32 v43, v93
	v_pk_add_f32 v[20:21], v[98:99], v[4:5]
	v_pk_add_f32 v[2:3], v[42:43], v[2:3]
	v_mov_b32_e32 v4, v33
	v_mov_b32_e32 v5, v27
	v_pk_fma_f32 v[116:117], v[68:69], s[10:11], v[70:71] neg_lo:[1,0,0] neg_hi:[1,0,0]
	v_pk_add_f32 v[2:3], v[4:5], v[2:3]
	v_mov_b32_e32 v33, v26
	v_mov_b32_e32 v116, v114
	v_pk_add_f32 v[2:3], v[32:33], v[2:3]
	v_mov_b32_e32 v4, v51
	v_mov_b32_e32 v5, v77
	s_movk_i32 s0, 0xffb0
	v_pk_add_f32 v[108:109], v[116:117], v[108:109]
	v_mov_b32_e32 v14, v24
	v_pk_add_f32 v[2:3], v[4:5], v[2:3]
	v_mov_b32_e32 v51, v76
	v_mad_i32_i24 v26, v53, s0, v75
	v_pk_add_f32 v[14:15], v[14:15], v[108:109]
	v_pk_add_f32 v[18:19], v[50:51], v[2:3]
	v_add_u32_e32 v2, 0x800, v26
	ds_write2_b64 v75, v[14:15], v[16:17] offset0:6 offset1:7
	ds_write2_b64 v75, v[20:21], v[18:19] offset0:8 offset1:9
	ds_write_b64 v75, v[0:1] offset:80
	s_waitcnt lgkmcnt(0)
	s_barrier
	v_lshl_add_u32 v27, v53, 3, v67
	ds_read2_b64 v[4:7], v26 offset0:121 offset1:242
	ds_read2_b64 v[8:11], v2 offset0:107 offset1:228
	ds_read_b64 v[22:23], v27
	ds_read_b64 v[24:25], v26 offset:4840
	v_cmp_gt_u32_e64 s[0:1], 55, v53
	v_lshlrev_b32_e32 v28, 3, v54
	v_lshlrev_b32_e32 v29, 3, v55
	s_and_saveexec_b64 s[2:3], s[0:1]
	s_cbranch_execz .LBB0_15
; %bb.14:
	v_add3_u32 v0, 0, v28, v29
	ds_read_b64 v[14:15], v0
	v_add_u32_e32 v0, 0x400, v26
	ds_read2_b64 v[30:33], v0 offset0:59 offset1:180
	v_add_u32_e32 v0, 0xc00, v26
	ds_read2_b32 v[18:19], v0 offset0:90 offset1:91
	v_add_u32_e32 v0, 0x1000, v26
	ds_read2_b64 v[0:3], v0 offset0:38 offset1:159
	s_waitcnt lgkmcnt(2)
	v_mov_b32_e32 v21, v33
	v_mov_b32_e32 v20, v32
	;; [unrolled: 1-line block ×4, first 2 shown]
.LBB0_15:
	s_or_b64 exec, exec, s[2:3]
	s_movk_i32 s11, 0x75
	v_mul_lo_u16_sdwa v30, v53, s11 dst_sel:DWORD dst_unused:UNUSED_PAD src0_sel:BYTE_0 src1_sel:DWORD
	v_sub_u16_sdwa v31, v53, v30 dst_sel:DWORD dst_unused:UNUSED_PAD src0_sel:DWORD src1_sel:BYTE_1
	v_lshrrev_b16_e32 v31, 1, v31
	v_and_b32_e32 v31, 0x7f, v31
	v_add_u16_sdwa v30, v31, v30 dst_sel:DWORD dst_unused:UNUSED_PAD src0_sel:DWORD src1_sel:BYTE_1
	v_lshrrev_b16_e32 v42, 3, v30
	v_mul_lo_u16_e32 v30, 11, v42
	v_sub_u16_e32 v43, v53, v30
	v_mov_b32_e32 v31, 5
	v_mul_u32_u24_sdwa v30, v43, v31 dst_sel:DWORD dst_unused:UNUSED_PAD src0_sel:BYTE_0 src1_sel:DWORD
	v_lshlrev_b32_e32 v30, 3, v30
	global_load_dwordx4 v[32:35], v30, s[4:5]
	global_load_dwordx4 v[36:39], v30, s[4:5] offset:16
	global_load_dwordx2 v[40:41], v30, s[4:5] offset:32
	s_movk_i32 s10, 0x210
	v_mov_b32_e32 v30, 3
	v_mad_u32_u24 v42, v42, s10, 0
	v_lshlrev_b32_sdwa v43, v30, v43 dst_sel:DWORD dst_unused:UNUSED_PAD src0_sel:DWORD src1_sel:BYTE_0
	v_add3_u32 v55, v42, v43, v29
	s_mov_b32 s2, 0x3f5db3d7
	s_mov_b32 s3, 0xbf5db3d7
	s_waitcnt lgkmcnt(0)
	s_barrier
	s_waitcnt vmcnt(2)
	v_pk_mul_f32 v[42:43], v[32:33], v[4:5] op_sel:[0,1]
	v_pk_mul_f32 v[44:45], v[34:35], v[6:7] op_sel:[0,1]
	s_waitcnt vmcnt(1)
	v_pk_mul_f32 v[46:47], v[36:37], v[8:9] op_sel:[0,1]
	v_pk_mul_f32 v[48:49], v[38:39], v[10:11] op_sel:[0,1]
	s_waitcnt vmcnt(0)
	v_pk_mul_f32 v[50:51], v[40:41], v[24:25] op_sel:[0,1]
	v_pk_fma_f32 v[56:57], v[32:33], v[4:5], v[42:43] op_sel:[0,0,1] op_sel_hi:[1,1,0] neg_lo:[0,0,1] neg_hi:[0,0,1]
	v_pk_fma_f32 v[4:5], v[32:33], v[4:5], v[42:43] op_sel:[0,0,1] op_sel_hi:[1,0,0]
	v_pk_fma_f32 v[32:33], v[34:35], v[6:7], v[44:45] op_sel:[0,0,1] op_sel_hi:[1,1,0] neg_lo:[0,0,1] neg_hi:[0,0,1]
	v_pk_fma_f32 v[6:7], v[34:35], v[6:7], v[44:45] op_sel:[0,0,1] op_sel_hi:[1,0,0]
	;; [unrolled: 2-line block ×5, first 2 shown]
	v_mov_b32_e32 v33, v7
	v_mov_b32_e32 v35, v9
	;; [unrolled: 1-line block ×5, first 2 shown]
	v_pk_add_f32 v[8:9], v[32:33], v[36:37]
	v_pk_add_f32 v[10:11], v[32:33], v[36:37] neg_lo:[0,1] neg_hi:[0,1]
	v_pk_add_f32 v[24:25], v[34:35], v[38:39]
	v_pk_add_f32 v[4:5], v[22:23], v[32:33]
	;; [unrolled: 1-line block ×3, first 2 shown]
	v_pk_add_f32 v[32:33], v[34:35], v[38:39] neg_lo:[0,1] neg_hi:[0,1]
	v_pk_fma_f32 v[8:9], v[8:9], 0.5, v[22:23] op_sel_hi:[1,0,1] neg_lo:[1,0,0] neg_hi:[1,0,0]
	v_pk_mul_f32 v[10:11], v[10:11], s[2:3] op_sel_hi:[1,0]
	v_pk_fma_f32 v[22:23], v[24:25], 0.5, v[56:57] op_sel_hi:[1,0,1] neg_lo:[1,0,0] neg_hi:[1,0,0]
	v_pk_add_f32 v[4:5], v[4:5], v[36:37]
	v_pk_add_f32 v[6:7], v[6:7], v[38:39]
	v_pk_add_f32 v[34:35], v[10:11], v[8:9] op_sel:[1,0] op_sel_hi:[0,1]
	v_pk_add_f32 v[8:9], v[8:9], v[10:11] op_sel:[0,1] op_sel_hi:[1,0] neg_lo:[0,1] neg_hi:[0,1]
	v_pk_fma_f32 v[10:11], v[32:33], s[2:3], v[22:23] op_sel:[0,0,1] op_sel_hi:[1,0,0]
	v_pk_fma_f32 v[22:23], v[32:33], s[2:3], v[22:23] op_sel:[0,0,1] op_sel_hi:[1,0,0] neg_lo:[1,0,0] neg_hi:[1,0,0]
	v_pk_add_f32 v[24:25], v[4:5], v[6:7]
	v_pk_add_f32 v[4:5], v[4:5], v[6:7] neg_lo:[0,1] neg_hi:[0,1]
	v_mov_b32_e32 v6, v8
	v_mov_b32_e32 v32, v10
	;; [unrolled: 1-line block ×3, first 2 shown]
	v_mul_f32_e32 v8, 0x3f5db3d7, v22
	v_mov_b32_e32 v7, v35
	v_mul_f32_e32 v35, 0xbf5db3d7, v11
	v_fmac_f32_e32 v8, 0.5, v11
	v_pk_mul_f32 v[10:11], v[32:33], 0.5 op_sel_hi:[1,0]
	v_fmac_f32_e32 v35, 0.5, v22
	v_pk_fma_f32 v[10:11], v[32:33], s[2:3], v[10:11] op_sel:[0,0,1] op_sel_hi:[1,1,0] neg_lo:[0,0,1] neg_hi:[0,0,1]
	v_add_f32_e32 v22, v34, v8
	v_add_f32_e32 v23, v9, v35
	v_pk_add_f32 v[32:33], v[6:7], v[10:11]
	v_sub_f32_e32 v8, v34, v8
	v_sub_f32_e32 v9, v9, v35
	ds_write2_b64 v55, v[24:25], v[22:23] offset1:11
	v_pk_add_f32 v[6:7], v[6:7], v[10:11] neg_lo:[0,1] neg_hi:[0,1]
	ds_write2_b64 v55, v[32:33], v[4:5] offset0:22 offset1:33
	ds_write2_b64 v55, v[8:9], v[6:7] offset0:44 offset1:55
	s_and_saveexec_b64 s[6:7], s[0:1]
	s_cbranch_execz .LBB0_17
; %bb.16:
	v_mul_lo_u16_sdwa v4, v54, s11 dst_sel:DWORD dst_unused:UNUSED_PAD src0_sel:BYTE_0 src1_sel:DWORD
	v_sub_u16_sdwa v5, v54, v4 dst_sel:DWORD dst_unused:UNUSED_PAD src0_sel:DWORD src1_sel:BYTE_1
	v_lshrrev_b16_e32 v5, 1, v5
	v_and_b32_e32 v5, 0x7f, v5
	v_add_u16_sdwa v4, v5, v4 dst_sel:DWORD dst_unused:UNUSED_PAD src0_sel:DWORD src1_sel:BYTE_1
	v_lshrrev_b16_e32 v25, 3, v4
	v_mul_lo_u16_e32 v4, 11, v25
	v_sub_u16_e32 v33, v54, v4
	v_mul_u32_u24_sdwa v4, v33, v31 dst_sel:DWORD dst_unused:UNUSED_PAD src0_sel:BYTE_0 src1_sel:DWORD
	v_lshlrev_b32_e32 v24, 3, v4
	global_load_dwordx4 v[4:7], v24, s[4:5]
	global_load_dwordx4 v[8:11], v24, s[4:5] offset:16
	global_load_dwordx2 v[22:23], v24, s[4:5] offset:32
	v_mov_b32_e32 v24, v21
	v_mov_b32_e32 v34, v19
	;; [unrolled: 1-line block ×4, first 2 shown]
	v_mad_u32_u24 v3, v25, s10, 0
	v_lshlrev_b32_sdwa v17, v30, v33 dst_sel:DWORD dst_unused:UNUSED_PAD src0_sel:DWORD src1_sel:BYTE_0
	v_add3_u32 v40, v3, v17, v29
	s_waitcnt vmcnt(2)
	v_pk_mul_f32 v[24:25], v[24:25], v[6:7] op_sel_hi:[0,1]
	s_waitcnt vmcnt(1)
	v_pk_mul_f32 v[30:31], v[0:1], v[10:11] op_sel:[1,0]
	v_pk_mul_f32 v[34:35], v[34:35], v[8:9] op_sel_hi:[0,1]
	s_waitcnt vmcnt(0)
	v_pk_mul_f32 v[36:37], v[36:37], v[22:23] op_sel_hi:[0,1]
	v_pk_mul_f32 v[32:33], v[32:33], v[4:5] op_sel_hi:[0,1]
	v_pk_fma_f32 v[38:39], v[20:21], v[6:7], v[24:25] op_sel:[0,0,1] op_sel_hi:[1,1,0] neg_lo:[0,0,1] neg_hi:[0,0,1]
	v_pk_fma_f32 v[6:7], v[20:21], v[6:7], v[24:25] op_sel:[0,0,1] op_sel_hi:[0,1,0]
	v_pk_fma_f32 v[20:21], v[0:1], v[10:11], v[30:31] op_sel:[0,0,1] op_sel_hi:[1,1,0] neg_lo:[0,0,1] neg_hi:[0,0,1]
	v_pk_fma_f32 v[0:1], v[0:1], v[10:11], v[30:31] op_sel:[0,0,1] op_sel_hi:[0,1,0]
	;; [unrolled: 2-line block ×5, first 2 shown]
	v_mov_b32_e32 v11, v9
	v_mov_b32_e32 v19, v3
	;; [unrolled: 1-line block ×5, first 2 shown]
	v_pk_add_f32 v[6:7], v[10:11], v[18:19]
	v_pk_add_f32 v[0:1], v[14:15], v[38:39]
	;; [unrolled: 1-line block ×3, first 2 shown]
	v_pk_add_f32 v[4:5], v[10:11], v[18:19] neg_lo:[0,1] neg_hi:[0,1]
	v_pk_add_f32 v[8:9], v[38:39], v[20:21]
	v_pk_add_f32 v[10:11], v[38:39], v[20:21] neg_lo:[0,1] neg_hi:[0,1]
	v_pk_fma_f32 v[6:7], v[6:7], 0.5, v[22:23] op_sel_hi:[1,0,1] neg_lo:[1,0,0] neg_hi:[1,0,0]
	v_pk_add_f32 v[0:1], v[0:1], v[20:21]
	v_pk_add_f32 v[2:3], v[2:3], v[18:19]
	v_pk_fma_f32 v[8:9], v[8:9], 0.5, v[14:15] op_sel_hi:[1,0,1] neg_lo:[1,0,0] neg_hi:[1,0,0]
	v_pk_mul_f32 v[10:11], v[10:11], s[2:3] op_sel_hi:[1,0]
	v_pk_fma_f32 v[16:17], v[4:5], s[2:3], v[6:7] op_sel:[0,0,1] op_sel_hi:[1,0,0]
	v_pk_fma_f32 v[4:5], v[4:5], s[2:3], v[6:7] op_sel:[0,0,1] op_sel_hi:[1,0,0] neg_lo:[1,0,0] neg_hi:[1,0,0]
	v_pk_add_f32 v[14:15], v[0:1], v[2:3]
	v_pk_add_f32 v[6:7], v[8:9], v[10:11] op_sel:[0,1] op_sel_hi:[1,0] neg_lo:[0,1] neg_hi:[0,1]
	v_pk_add_f32 v[8:9], v[8:9], v[10:11] op_sel:[0,1] op_sel_hi:[1,0]
	v_pk_add_f32 v[0:1], v[0:1], v[2:3] neg_lo:[0,1] neg_hi:[0,1]
	v_mov_b32_e32 v2, v16
	v_mov_b32_e32 v3, v5
	;; [unrolled: 1-line block ×4, first 2 shown]
	v_mul_f32_e32 v6, 0xbf5db3d7, v17
	v_mul_f32_e32 v9, 0x3f5db3d7, v4
	v_pk_mul_f32 v[18:19], v[2:3], 0.5 op_sel_hi:[1,0]
	v_fmac_f32_e32 v6, 0.5, v4
	v_fmac_f32_e32 v9, 0.5, v17
	v_pk_fma_f32 v[2:3], v[2:3], s[2:3], v[18:19] op_sel:[0,0,1] op_sel_hi:[1,1,0] neg_lo:[0,0,1] neg_hi:[0,0,1]
	v_sub_f32_e32 v5, v7, v6
	v_sub_f32_e32 v4, v8, v9
	v_add_f32_e32 v7, v7, v6
	v_add_f32_e32 v6, v8, v9
	v_pk_add_f32 v[8:9], v[10:11], v[2:3]
	ds_write2_b64 v40, v[14:15], v[6:7] offset1:11
	v_pk_add_f32 v[2:3], v[10:11], v[2:3] neg_lo:[0,1] neg_hi:[0,1]
	ds_write2_b64 v40, v[8:9], v[0:1] offset0:22 offset1:33
	ds_write2_b64 v40, v[4:5], v[2:3] offset0:44 offset1:55
.LBB0_17:
	s_or_b64 exec, exec, s[6:7]
	s_waitcnt lgkmcnt(0)
	s_barrier
	s_and_saveexec_b64 s[0:1], vcc
	s_cbranch_execz .LBB0_19
; %bb.18:
	v_mul_u32_u24_e32 v0, 10, v53
	v_lshlrev_b32_e32 v6, 3, v0
	v_add3_u32 v0, 0, v28, v29
	v_add_u32_e32 v2, 0x1000, v26
	ds_read_b64 v[18:19], v0
	ds_read_b64 v[22:23], v26 offset:5280
	ds_read_b64 v[0:1], v27
	ds_read2_b64 v[28:31], v26 offset0:132 offset1:198
	ds_read2_b64 v[32:35], v2 offset0:16 offset1:82
	v_add_u32_e32 v2, 0x800, v26
	ds_read2_b64 v[36:39], v2 offset0:8 offset1:74
	ds_read2_b64 v[40:43], v2 offset0:140 offset1:206
	global_load_dwordx4 v[24:27], v6, s[4:5] offset:504
	global_load_dwordx4 v[44:47], v6, s[4:5] offset:456
	;; [unrolled: 1-line block ×5, first 2 shown]
	v_mad_u64_u32 v[2:3], s[0:1], s8, v52, 0
	v_mov_b32_e32 v4, v3
	v_mad_u64_u32 v[4:5], s[0:1], s9, v52, v[4:5]
	v_mov_b32_e32 v3, v4
	v_add_u32_e32 v5, 0x42, v52
	v_lshl_add_u64 v[20:21], v[2:3], 3, v[12:13]
	v_mad_u64_u32 v[2:3], s[0:1], s8, v5, 0
	v_mov_b32_e32 v4, v3
	v_mad_u64_u32 v[4:5], s[0:1], s9, v5, v[4:5]
	v_mov_b32_e32 v3, v4
	v_add_u32_e32 v5, 0x84, v52
	v_lshl_add_u64 v[62:63], v[2:3], 3, v[12:13]
	;; [unrolled: 6-line block ×5, first 2 shown]
	v_mad_u64_u32 v[2:3], s[0:1], s8, v5, 0
	v_mov_b32_e32 v4, v3
	v_mad_u64_u32 v[4:5], s[0:1], s9, v5, v[4:5]
	v_add_u32_e32 v7, 0x18c, v52
	v_mov_b32_e32 v3, v4
	v_mad_u64_u32 v[4:5], s[0:1], s8, v7, 0
	v_mov_b32_e32 v6, v5
	v_mad_u64_u32 v[6:7], s[0:1], s9, v7, v[6:7]
	v_add_u32_e32 v9, 0x1ce, v52
	v_mov_b32_e32 v5, v6
	;; [unrolled: 5-line block ×4, first 2 shown]
	v_mad_u64_u32 v[10:11], s[0:1], s8, v53, 0
	v_mov_b32_e32 v66, v11
	v_mad_u64_u32 v[66:67], s[0:1], s9, v53, v[66:67]
	v_add_u32_e32 v67, 0x294, v52
	v_mad_u64_u32 v[52:53], s[0:1], s8, v67, 0
	v_mov_b32_e32 v11, v66
	v_mov_b32_e32 v66, v53
	v_mad_u64_u32 v[66:67], s[0:1], s9, v67, v[66:67]
	v_mov_b32_e32 v53, v66
	v_lshl_add_u64 v[2:3], v[2:3], 3, v[12:13]
	v_lshl_add_u64 v[4:5], v[4:5], 3, v[12:13]
	v_lshl_add_u64 v[6:7], v[6:7], 3, v[12:13]
	v_lshl_add_u64 v[8:9], v[8:9], 3, v[12:13]
	v_lshl_add_u64 v[10:11], v[10:11], 3, v[12:13]
	v_lshl_add_u64 v[12:13], v[52:53], 3, v[12:13]
	s_waitcnt vmcnt(4) lgkmcnt(5)
	v_pk_mul_f32 v[52:53], v[26:27], v[22:23] op_sel:[0,1]
	s_mov_b32 s4, 0x3f575c64
	v_pk_fma_f32 v[66:67], v[22:23], v[26:27], v[52:53] op_sel:[0,0,1] op_sel_hi:[1,1,0] neg_lo:[0,0,1] neg_hi:[0,0,1]
	v_pk_fma_f32 v[22:23], v[22:23], v[26:27], v[52:53] op_sel:[0,0,1] op_sel_hi:[0,1,0]
	v_mov_b32_e32 v67, v23
	s_waitcnt vmcnt(2)
	v_pk_mul_f32 v[22:23], v[48:49], v[18:19] op_sel:[0,1]
	s_waitcnt lgkmcnt(2)
	v_pk_mul_f32 v[26:27], v[24:25], v[34:35] op_sel:[0,1]
	v_pk_fma_f32 v[52:53], v[48:49], v[18:19], v[22:23] op_sel:[0,0,1] op_sel_hi:[1,1,0] neg_lo:[0,0,1] neg_hi:[0,0,1]
	v_pk_fma_f32 v[18:19], v[48:49], v[18:19], v[22:23] op_sel:[0,0,1] op_sel_hi:[1,0,0]
	v_pk_fma_f32 v[48:49], v[34:35], v[24:25], v[26:27] op_sel:[0,0,1] op_sel_hi:[1,1,0] neg_lo:[0,0,1] neg_hi:[0,0,1]
	v_pk_fma_f32 v[24:25], v[34:35], v[24:25], v[26:27] op_sel:[0,0,1] op_sel_hi:[0,1,0]
	v_mov_b32_e32 v49, v25
	v_pk_mul_f32 v[24:25], v[50:51], v[28:29] op_sel:[0,1]
	s_waitcnt vmcnt(1)
	v_pk_mul_f32 v[26:27], v[56:57], v[32:33] op_sel:[0,1]
	v_pk_fma_f32 v[34:35], v[50:51], v[28:29], v[24:25] op_sel:[0,0,1] op_sel_hi:[1,1,0] neg_lo:[0,0,1] neg_hi:[0,0,1]
	v_pk_fma_f32 v[24:25], v[50:51], v[28:29], v[24:25] op_sel:[0,0,1] op_sel_hi:[1,0,0]
	v_pk_fma_f32 v[50:51], v[32:33], v[56:57], v[26:27] op_sel:[0,0,1] op_sel_hi:[1,1,0] neg_lo:[0,0,1] neg_hi:[0,0,1]
	v_pk_fma_f32 v[26:27], v[32:33], v[56:57], v[26:27] op_sel:[0,0,1] op_sel_hi:[0,1,0]
	v_mov_b32_e32 v51, v27
	v_pk_mul_f32 v[26:27], v[44:45], v[30:31] op_sel:[0,1]
	v_mov_b32_e32 v53, v19
	v_pk_fma_f32 v[32:33], v[44:45], v[30:31], v[26:27] op_sel:[0,0,1] op_sel_hi:[1,1,0] neg_lo:[0,0,1] neg_hi:[0,0,1]
	v_pk_fma_f32 v[26:27], v[44:45], v[30:31], v[26:27] op_sel:[0,0,1] op_sel_hi:[1,0,0]
	s_waitcnt lgkmcnt(0)
	v_pk_mul_f32 v[30:31], v[54:55], v[42:43] op_sel:[0,1]
	v_pk_add_f32 v[22:23], v[52:53], v[66:67] neg_lo:[0,1] neg_hi:[0,1]
	v_pk_fma_f32 v[56:57], v[42:43], v[54:55], v[30:31] op_sel:[0,0,1] op_sel_hi:[1,1,0] neg_lo:[0,0,1] neg_hi:[0,0,1]
	v_pk_fma_f32 v[30:31], v[42:43], v[54:55], v[30:31] op_sel:[0,0,1] op_sel_hi:[0,1,0]
	v_mov_b32_e32 v57, v31
	v_pk_mul_f32 v[30:31], v[46:47], v[36:37] op_sel:[0,1]
	v_pk_add_f32 v[18:19], v[52:53], v[66:67]
	v_pk_fma_f32 v[42:43], v[46:47], v[36:37], v[30:31] op_sel:[0,0,1] op_sel_hi:[1,1,0] neg_lo:[0,0,1] neg_hi:[0,0,1]
	v_pk_fma_f32 v[30:31], v[46:47], v[36:37], v[30:31] op_sel:[0,0,1] op_sel_hi:[1,0,0]
	s_waitcnt vmcnt(0)
	v_pk_mul_f32 v[46:47], v[60:61], v[40:41] op_sel:[0,1]
	v_mov_b32_e32 v35, v25
	v_pk_fma_f32 v[54:55], v[40:41], v[60:61], v[46:47] op_sel:[0,0,1] op_sel_hi:[1,1,0] neg_lo:[0,0,1] neg_hi:[0,0,1]
	v_pk_fma_f32 v[40:41], v[40:41], v[60:61], v[46:47] op_sel:[0,0,1] op_sel_hi:[0,1,0]
	v_pk_add_f32 v[52:53], v[52:53], v[0:1]
	v_pk_add_f32 v[28:29], v[34:35], v[48:49] neg_lo:[0,1] neg_hi:[0,1]
	v_pk_add_f32 v[24:25], v[34:35], v[48:49]
	v_mov_b32_e32 v33, v27
	v_mov_b32_e32 v55, v41
	v_pk_mul_f32 v[40:41], v[58:59], v[38:39] op_sel:[0,1]
	v_pk_add_f32 v[34:35], v[52:53], v[34:35]
	v_pk_add_f32 v[44:45], v[32:33], v[50:51] neg_lo:[0,1] neg_hi:[0,1]
	v_pk_add_f32 v[26:27], v[32:33], v[50:51]
	v_mov_b32_e32 v43, v31
	v_pk_fma_f32 v[46:47], v[58:59], v[38:39], v[40:41] op_sel:[0,0,1] op_sel_hi:[1,1,0] neg_lo:[0,0,1] neg_hi:[0,0,1]
	v_pk_fma_f32 v[38:39], v[58:59], v[38:39], v[40:41] op_sel:[0,0,1] op_sel_hi:[1,0,0]
	v_pk_add_f32 v[32:33], v[34:35], v[32:33]
	v_mov_b32_e32 v47, v39
	v_pk_add_f32 v[32:33], v[32:33], v[42:43]
	v_pk_mul_f32 v[58:59], v[22:23], s[16:17] op_sel:[1,0] op_sel_hi:[0,0]
	s_mov_b32 s18, 0xbf68dda4
	v_pk_add_f32 v[32:33], v[32:33], v[46:47]
	s_mov_b32 s0, 0x3ed4b147
	v_pk_mul_f32 v[60:61], v[28:29], s[18:19] op_sel:[1,0] op_sel_hi:[0,0]
	v_pk_fma_f32 v[74:75], v[18:19], s[4:5], v[58:59] op_sel_hi:[1,0,1]
	v_pk_fma_f32 v[58:59], v[18:19], s[4:5], v[58:59] op_sel_hi:[1,0,1] neg_lo:[0,0,1] neg_hi:[0,0,1]
	v_pk_add_f32 v[32:33], v[32:33], v[54:55]
	s_mov_b32 s8, 0xbf7d64f0
	v_mov_b32_e32 v76, v74
	v_mov_b32_e32 v77, v59
	v_pk_fma_f32 v[78:79], v[24:25], s[0:1], v[60:61] op_sel_hi:[1,0,1]
	v_pk_fma_f32 v[60:61], v[24:25], s[0:1], v[60:61] op_sel_hi:[1,0,1] neg_lo:[0,0,1] neg_hi:[0,0,1]
	v_pk_add_f32 v[32:33], v[56:57], v[32:33]
	s_mov_b32 s2, 0xbe11bafb
	v_pk_mul_f32 v[68:69], v[44:45], s[8:9] op_sel:[1,0] op_sel_hi:[0,0]
	v_pk_add_f32 v[76:77], v[76:77], v[0:1]
	v_mov_b32_e32 v80, v78
	v_mov_b32_e32 v81, v61
	v_pk_add_f32 v[32:33], v[50:51], v[32:33]
	v_pk_add_f32 v[36:37], v[42:43], v[56:57] neg_lo:[0,1] neg_hi:[0,1]
	s_mov_b32 s12, 0xbf4178ce
	v_pk_add_f32 v[76:77], v[76:77], v[80:81]
	v_pk_fma_f32 v[80:81], v[26:27], s[2:3], v[68:69] op_sel_hi:[1,0,1]
	v_pk_fma_f32 v[68:69], v[26:27], s[2:3], v[68:69] op_sel_hi:[1,0,1] neg_lo:[0,0,1] neg_hi:[0,0,1]
	v_pk_add_f32 v[32:33], v[48:49], v[32:33]
	v_pk_add_f32 v[30:31], v[42:43], v[56:57]
	s_mov_b32 s6, 0xbf27a4f4
	v_pk_mul_f32 v[70:71], v[36:37], s[12:13] op_sel:[1,0] op_sel_hi:[0,0]
	v_mov_b32_e32 v82, v80
	v_mov_b32_e32 v83, v69
	v_pk_add_f32 v[32:33], v[66:67], v[32:33]
	v_mov_b32_e32 v59, v75
	v_pk_add_f32 v[38:39], v[46:47], v[54:55] neg_lo:[0,1] neg_hi:[0,1]
	s_mov_b32 s14, 0xbe903f40
	v_pk_add_f32 v[76:77], v[76:77], v[82:83]
	v_pk_fma_f32 v[82:83], v[30:31], s[6:7], v[70:71] op_sel_hi:[1,0,1]
	v_pk_fma_f32 v[70:71], v[30:31], s[6:7], v[70:71] op_sel_hi:[1,0,1] neg_lo:[0,0,1] neg_hi:[0,0,1]
	global_store_dwordx2 v[20:21], v[32:33], off
	v_pk_add_f32 v[20:21], v[58:59], v[0:1]
	v_mov_b32_e32 v61, v79
	v_pk_add_f32 v[40:41], v[46:47], v[54:55]
	s_mov_b32 s10, 0xbf75a155
	v_pk_mul_f32 v[72:73], v[38:39], s[14:15] op_sel:[1,0] op_sel_hi:[0,0]
	v_mov_b32_e32 v84, v82
	v_mov_b32_e32 v85, v71
	v_pk_add_f32 v[20:21], v[20:21], v[60:61]
	v_mov_b32_e32 v69, v81
	v_pk_add_f32 v[76:77], v[76:77], v[84:85]
	v_pk_fma_f32 v[84:85], v[40:41], s[10:11], v[72:73] op_sel_hi:[1,0,1]
	v_pk_fma_f32 v[72:73], v[40:41], s[10:11], v[72:73] op_sel_hi:[1,0,1] neg_lo:[0,0,1] neg_hi:[0,0,1]
	v_pk_add_f32 v[20:21], v[20:21], v[68:69]
	v_mov_b32_e32 v71, v83
	v_mov_b32_e32 v87, v73
	v_pk_add_f32 v[20:21], v[20:21], v[70:71]
	v_mov_b32_e32 v73, v85
	v_pk_add_f32 v[20:21], v[20:21], v[72:73]
	global_store_dwordx2 v[62:63], v[20:21], off
	v_pk_mul_f32 v[20:21], v[22:23], s[18:19] op_sel:[1,0] op_sel_hi:[0,0]
	v_pk_mul_f32 v[32:33], v[28:29], s[12:13] op_sel:[1,0] op_sel_hi:[0,0]
	v_pk_fma_f32 v[48:49], v[18:19], s[0:1], v[20:21] op_sel_hi:[1,0,1]
	v_pk_fma_f32 v[20:21], v[18:19], s[0:1], v[20:21] op_sel_hi:[1,0,1] neg_lo:[0,0,1] neg_hi:[0,0,1]
	s_mov_b32 s20, 0x3e903f40
	v_mov_b32_e32 v50, v48
	v_mov_b32_e32 v51, v21
	v_pk_fma_f32 v[52:53], v[24:25], s[6:7], v[32:33] op_sel_hi:[1,0,1]
	v_pk_fma_f32 v[32:33], v[24:25], s[6:7], v[32:33] op_sel_hi:[1,0,1] neg_lo:[0,0,1] neg_hi:[0,0,1]
	v_pk_mul_f32 v[34:35], v[44:45], s[20:21] op_sel:[1,0] op_sel_hi:[0,0]
	v_pk_add_f32 v[50:51], v[50:51], v[0:1]
	v_mov_b32_e32 v54, v52
	v_mov_b32_e32 v55, v33
	s_mov_b32 s22, 0x3f7d64f0
	v_pk_add_f32 v[50:51], v[50:51], v[54:55]
	v_pk_fma_f32 v[54:55], v[26:27], s[10:11], v[34:35] op_sel_hi:[1,0,1]
	v_pk_fma_f32 v[34:35], v[26:27], s[10:11], v[34:35] op_sel_hi:[1,0,1] neg_lo:[0,0,1] neg_hi:[0,0,1]
	v_pk_mul_f32 v[42:43], v[36:37], s[22:23] op_sel:[1,0] op_sel_hi:[0,0]
	v_mov_b32_e32 v56, v54
	v_mov_b32_e32 v57, v35
	v_mov_b32_e32 v21, v49
	s_mov_b32 s18, 0x3f0a6770
	v_pk_add_f32 v[50:51], v[50:51], v[56:57]
	v_pk_fma_f32 v[56:57], v[30:31], s[2:3], v[42:43] op_sel_hi:[1,0,1]
	v_pk_fma_f32 v[42:43], v[30:31], s[2:3], v[42:43] op_sel_hi:[1,0,1] neg_lo:[0,0,1] neg_hi:[0,0,1]
	v_pk_add_f32 v[20:21], v[20:21], v[0:1]
	v_mov_b32_e32 v33, v53
	v_pk_mul_f32 v[46:47], v[38:39], s[18:19] op_sel:[1,0] op_sel_hi:[0,0]
	v_mov_b32_e32 v58, v56
	v_mov_b32_e32 v59, v43
	v_pk_add_f32 v[20:21], v[20:21], v[32:33]
	v_mov_b32_e32 v35, v55
	v_pk_add_f32 v[50:51], v[50:51], v[58:59]
	v_pk_fma_f32 v[58:59], v[40:41], s[4:5], v[46:47] op_sel_hi:[1,0,1]
	v_pk_fma_f32 v[46:47], v[40:41], s[4:5], v[46:47] op_sel_hi:[1,0,1] neg_lo:[0,0,1] neg_hi:[0,0,1]
	v_pk_add_f32 v[20:21], v[20:21], v[34:35]
	v_mov_b32_e32 v43, v57
	v_mov_b32_e32 v61, v47
	v_pk_add_f32 v[20:21], v[20:21], v[42:43]
	v_mov_b32_e32 v47, v59
	v_pk_add_f32 v[20:21], v[20:21], v[46:47]
	global_store_dwordx2 v[64:65], v[20:21], off
	v_pk_mul_f32 v[20:21], v[22:23], s[8:9] op_sel:[1,0] op_sel_hi:[0,0]
	v_pk_mul_f32 v[32:33], v[28:29], s[20:21] op_sel:[1,0] op_sel_hi:[0,0]
	v_pk_fma_f32 v[48:49], v[18:19], s[2:3], v[20:21] op_sel_hi:[1,0,1]
	v_pk_fma_f32 v[20:21], v[18:19], s[2:3], v[20:21] op_sel_hi:[1,0,1] neg_lo:[0,0,1] neg_hi:[0,0,1]
	s_mov_b32 s20, 0x3f68dda4
	v_mov_b32_e32 v52, v48
	v_mov_b32_e32 v53, v21
	v_pk_fma_f32 v[54:55], v[24:25], s[10:11], v[32:33] op_sel_hi:[1,0,1]
	v_pk_fma_f32 v[32:33], v[24:25], s[10:11], v[32:33] op_sel_hi:[1,0,1] neg_lo:[0,0,1] neg_hi:[0,0,1]
	v_pk_mul_f32 v[34:35], v[44:45], s[20:21] op_sel:[1,0] op_sel_hi:[0,0]
	v_pk_add_f32 v[52:53], v[52:53], v[0:1]
	v_mov_b32_e32 v56, v54
	v_mov_b32_e32 v57, v33
	v_pk_add_f32 v[52:53], v[52:53], v[56:57]
	v_pk_fma_f32 v[56:57], v[26:27], s[0:1], v[34:35] op_sel_hi:[1,0,1]
	v_pk_fma_f32 v[34:35], v[26:27], s[0:1], v[34:35] op_sel_hi:[1,0,1] neg_lo:[0,0,1] neg_hi:[0,0,1]
	v_mov_b32_e32 v60, v58
	v_pk_mul_f32 v[42:43], v[36:37], s[16:17] op_sel:[1,0] op_sel_hi:[0,0]
	v_mov_b32_e32 v58, v56
	v_mov_b32_e32 v59, v35
	;; [unrolled: 1-line block ×3, first 2 shown]
	v_pk_add_f32 v[52:53], v[52:53], v[58:59]
	v_pk_fma_f32 v[58:59], v[30:31], s[4:5], v[42:43] op_sel_hi:[1,0,1]
	v_pk_fma_f32 v[42:43], v[30:31], s[4:5], v[42:43] op_sel_hi:[1,0,1] neg_lo:[0,0,1] neg_hi:[0,0,1]
	v_pk_add_f32 v[20:21], v[20:21], v[0:1]
	v_mov_b32_e32 v33, v55
	v_pk_add_f32 v[50:51], v[50:51], v[60:61]
	v_pk_mul_f32 v[46:47], v[38:39], s[12:13] op_sel:[1,0] op_sel_hi:[0,0]
	v_mov_b32_e32 v60, v58
	v_mov_b32_e32 v61, v43
	v_pk_add_f32 v[20:21], v[20:21], v[32:33]
	v_mov_b32_e32 v35, v57
	v_pk_add_f32 v[52:53], v[52:53], v[60:61]
	v_pk_fma_f32 v[60:61], v[40:41], s[6:7], v[46:47] op_sel_hi:[1,0,1]
	v_pk_fma_f32 v[46:47], v[40:41], s[6:7], v[46:47] op_sel_hi:[1,0,1] neg_lo:[0,0,1] neg_hi:[0,0,1]
	v_pk_add_f32 v[20:21], v[20:21], v[34:35]
	v_mov_b32_e32 v43, v59
	v_mov_b32_e32 v63, v47
	v_pk_add_f32 v[20:21], v[20:21], v[42:43]
	v_mov_b32_e32 v47, v61
	v_pk_add_f32 v[20:21], v[20:21], v[46:47]
	global_store_dwordx2 v[16:17], v[20:21], off
	v_pk_mul_f32 v[16:17], v[22:23], s[12:13] op_sel:[1,0] op_sel_hi:[0,0]
	v_pk_mul_f32 v[20:21], v[28:29], s[22:23] op_sel:[1,0] op_sel_hi:[0,0]
	v_pk_fma_f32 v[46:47], v[18:19], s[6:7], v[16:17] op_sel_hi:[1,0,1]
	v_pk_fma_f32 v[16:17], v[18:19], s[6:7], v[16:17] op_sel_hi:[1,0,1] neg_lo:[0,0,1] neg_hi:[0,0,1]
	v_mov_b32_e32 v48, v46
	v_mov_b32_e32 v49, v17
	v_pk_fma_f32 v[54:55], v[24:25], s[2:3], v[20:21] op_sel_hi:[1,0,1]
	v_pk_fma_f32 v[20:21], v[24:25], s[2:3], v[20:21] op_sel_hi:[1,0,1] neg_lo:[0,0,1] neg_hi:[0,0,1]
	v_pk_mul_f32 v[32:33], v[44:45], s[16:17] op_sel:[1,0] op_sel_hi:[0,0]
	v_pk_add_f32 v[48:49], v[48:49], v[0:1]
	v_mov_b32_e32 v56, v54
	v_mov_b32_e32 v57, v21
	v_pk_add_f32 v[48:49], v[48:49], v[56:57]
	v_pk_fma_f32 v[56:57], v[26:27], s[4:5], v[32:33] op_sel_hi:[1,0,1]
	v_pk_fma_f32 v[32:33], v[26:27], s[4:5], v[32:33] op_sel_hi:[1,0,1] neg_lo:[0,0,1] neg_hi:[0,0,1]
	v_pk_mul_f32 v[34:35], v[36:37], s[14:15] op_sel:[1,0] op_sel_hi:[0,0]
	v_mov_b32_e32 v58, v56
	v_mov_b32_e32 v59, v33
	;; [unrolled: 1-line block ×3, first 2 shown]
	v_pk_add_f32 v[48:49], v[48:49], v[58:59]
	v_pk_fma_f32 v[58:59], v[30:31], s[10:11], v[34:35] op_sel_hi:[1,0,1]
	v_pk_fma_f32 v[34:35], v[30:31], s[10:11], v[34:35] op_sel_hi:[1,0,1] neg_lo:[0,0,1] neg_hi:[0,0,1]
	v_pk_add_f32 v[16:17], v[16:17], v[0:1]
	v_mov_b32_e32 v21, v55
	v_mov_b32_e32 v62, v60
	v_pk_mul_f32 v[42:43], v[38:39], s[20:21] op_sel:[1,0] op_sel_hi:[0,0]
	v_mov_b32_e32 v60, v58
	v_mov_b32_e32 v61, v35
	v_pk_add_f32 v[16:17], v[16:17], v[20:21]
	v_mov_b32_e32 v33, v57
	v_pk_add_f32 v[48:49], v[48:49], v[60:61]
	v_pk_fma_f32 v[60:61], v[40:41], s[0:1], v[42:43] op_sel_hi:[1,0,1]
	v_pk_fma_f32 v[42:43], v[40:41], s[0:1], v[42:43] op_sel_hi:[1,0,1] neg_lo:[0,0,1] neg_hi:[0,0,1]
	v_pk_add_f32 v[16:17], v[16:17], v[32:33]
	v_mov_b32_e32 v35, v59
	v_pk_add_f32 v[52:53], v[52:53], v[62:63]
	v_mov_b32_e32 v63, v43
	;; [unrolled: 2-line block ×3, first 2 shown]
	v_pk_add_f32 v[16:17], v[16:17], v[42:43]
	global_store_dwordx2 v[14:15], v[16:17], off
	v_pk_mul_f32 v[14:15], v[22:23], s[14:15] op_sel:[1,0] op_sel_hi:[0,0]
	v_pk_mul_f32 v[16:17], v[28:29], s[18:19] op_sel:[1,0] op_sel_hi:[0,0]
	v_pk_fma_f32 v[32:33], v[18:19], s[10:11], v[14:15] op_sel_hi:[1,0,1]
	v_pk_fma_f32 v[14:15], v[18:19], s[10:11], v[14:15] op_sel_hi:[1,0,1] neg_lo:[0,0,1] neg_hi:[0,0,1]
	v_mov_b32_e32 v18, v32
	v_mov_b32_e32 v19, v15
	v_pk_fma_f32 v[34:35], v[24:25], s[4:5], v[16:17] op_sel_hi:[1,0,1]
	v_pk_fma_f32 v[16:17], v[24:25], s[4:5], v[16:17] op_sel_hi:[1,0,1] neg_lo:[0,0,1] neg_hi:[0,0,1]
	v_pk_mul_f32 v[20:21], v[44:45], s[12:13] op_sel:[1,0] op_sel_hi:[0,0]
	v_pk_add_f32 v[18:19], v[18:19], v[0:1]
	v_mov_b32_e32 v24, v34
	v_mov_b32_e32 v25, v17
	v_pk_add_f32 v[18:19], v[18:19], v[24:25]
	v_pk_fma_f32 v[24:25], v[26:27], s[6:7], v[20:21] op_sel_hi:[1,0,1]
	v_pk_fma_f32 v[20:21], v[26:27], s[6:7], v[20:21] op_sel_hi:[1,0,1] neg_lo:[0,0,1] neg_hi:[0,0,1]
	v_pk_mul_f32 v[22:23], v[36:37], s[20:21] op_sel:[1,0] op_sel_hi:[0,0]
	v_mov_b32_e32 v26, v24
	v_mov_b32_e32 v27, v21
	v_mov_b32_e32 v15, v33
	v_pk_add_f32 v[18:19], v[18:19], v[26:27]
	v_pk_fma_f32 v[26:27], v[30:31], s[0:1], v[22:23] op_sel_hi:[1,0,1]
	v_pk_fma_f32 v[22:23], v[30:31], s[0:1], v[22:23] op_sel_hi:[1,0,1] neg_lo:[0,0,1] neg_hi:[0,0,1]
	v_pk_add_f32 v[0:1], v[14:15], v[0:1]
	v_mov_b32_e32 v17, v35
	v_pk_mul_f32 v[28:29], v[38:39], s[8:9] op_sel:[1,0] op_sel_hi:[0,0]
	v_mov_b32_e32 v30, v26
	v_mov_b32_e32 v31, v23
	v_pk_add_f32 v[0:1], v[0:1], v[16:17]
	v_mov_b32_e32 v21, v25
	v_pk_add_f32 v[18:19], v[18:19], v[30:31]
	v_pk_fma_f32 v[30:31], v[40:41], s[2:3], v[28:29] op_sel_hi:[1,0,1]
	v_pk_fma_f32 v[28:29], v[40:41], s[2:3], v[28:29] op_sel_hi:[1,0,1] neg_lo:[0,0,1] neg_hi:[0,0,1]
	v_pk_add_f32 v[0:1], v[0:1], v[20:21]
	v_mov_b32_e32 v23, v27
	v_mov_b32_e32 v37, v29
	v_pk_add_f32 v[0:1], v[0:1], v[22:23]
	v_mov_b32_e32 v29, v31
	v_mov_b32_e32 v86, v84
	;; [unrolled: 1-line block ×4, first 2 shown]
	v_pk_add_f32 v[0:1], v[0:1], v[28:29]
	v_pk_add_f32 v[76:77], v[76:77], v[86:87]
	;; [unrolled: 1-line block ×4, first 2 shown]
	global_store_dwordx2 v[2:3], v[0:1], off
	global_store_dwordx2 v[4:5], v[18:19], off
	;; [unrolled: 1-line block ×6, first 2 shown]
.LBB0_19:
	s_endpgm
	.section	.rodata,"a",@progbits
	.p2align	6, 0x0
	.amdhsa_kernel fft_rtc_fwd_len726_factors_11_6_11_wgs_132_tpt_66_sp_ip_CI_sbrr_dirReg
		.amdhsa_group_segment_fixed_size 0
		.amdhsa_private_segment_fixed_size 0
		.amdhsa_kernarg_size 88
		.amdhsa_user_sgpr_count 2
		.amdhsa_user_sgpr_dispatch_ptr 0
		.amdhsa_user_sgpr_queue_ptr 0
		.amdhsa_user_sgpr_kernarg_segment_ptr 1
		.amdhsa_user_sgpr_dispatch_id 0
		.amdhsa_user_sgpr_kernarg_preload_length 0
		.amdhsa_user_sgpr_kernarg_preload_offset 0
		.amdhsa_user_sgpr_private_segment_size 0
		.amdhsa_uses_dynamic_stack 0
		.amdhsa_enable_private_segment 0
		.amdhsa_system_sgpr_workgroup_id_x 1
		.amdhsa_system_sgpr_workgroup_id_y 0
		.amdhsa_system_sgpr_workgroup_id_z 0
		.amdhsa_system_sgpr_workgroup_info 0
		.amdhsa_system_vgpr_workitem_id 0
		.amdhsa_next_free_vgpr 118
		.amdhsa_next_free_sgpr 40
		.amdhsa_accum_offset 120
		.amdhsa_reserve_vcc 1
		.amdhsa_float_round_mode_32 0
		.amdhsa_float_round_mode_16_64 0
		.amdhsa_float_denorm_mode_32 3
		.amdhsa_float_denorm_mode_16_64 3
		.amdhsa_dx10_clamp 1
		.amdhsa_ieee_mode 1
		.amdhsa_fp16_overflow 0
		.amdhsa_tg_split 0
		.amdhsa_exception_fp_ieee_invalid_op 0
		.amdhsa_exception_fp_denorm_src 0
		.amdhsa_exception_fp_ieee_div_zero 0
		.amdhsa_exception_fp_ieee_overflow 0
		.amdhsa_exception_fp_ieee_underflow 0
		.amdhsa_exception_fp_ieee_inexact 0
		.amdhsa_exception_int_div_zero 0
	.end_amdhsa_kernel
	.text
.Lfunc_end0:
	.size	fft_rtc_fwd_len726_factors_11_6_11_wgs_132_tpt_66_sp_ip_CI_sbrr_dirReg, .Lfunc_end0-fft_rtc_fwd_len726_factors_11_6_11_wgs_132_tpt_66_sp_ip_CI_sbrr_dirReg
                                        ; -- End function
	.section	.AMDGPU.csdata,"",@progbits
; Kernel info:
; codeLenInByte = 7700
; NumSgprs: 46
; NumVgprs: 118
; NumAgprs: 0
; TotalNumVgprs: 118
; ScratchSize: 0
; MemoryBound: 0
; FloatMode: 240
; IeeeMode: 1
; LDSByteSize: 0 bytes/workgroup (compile time only)
; SGPRBlocks: 5
; VGPRBlocks: 14
; NumSGPRsForWavesPerEU: 46
; NumVGPRsForWavesPerEU: 118
; AccumOffset: 120
; Occupancy: 4
; WaveLimiterHint : 1
; COMPUTE_PGM_RSRC2:SCRATCH_EN: 0
; COMPUTE_PGM_RSRC2:USER_SGPR: 2
; COMPUTE_PGM_RSRC2:TRAP_HANDLER: 0
; COMPUTE_PGM_RSRC2:TGID_X_EN: 1
; COMPUTE_PGM_RSRC2:TGID_Y_EN: 0
; COMPUTE_PGM_RSRC2:TGID_Z_EN: 0
; COMPUTE_PGM_RSRC2:TIDIG_COMP_CNT: 0
; COMPUTE_PGM_RSRC3_GFX90A:ACCUM_OFFSET: 29
; COMPUTE_PGM_RSRC3_GFX90A:TG_SPLIT: 0
	.text
	.p2alignl 6, 3212836864
	.fill 256, 4, 3212836864
	.type	__hip_cuid_ae57f8a347dbadbb,@object ; @__hip_cuid_ae57f8a347dbadbb
	.section	.bss,"aw",@nobits
	.globl	__hip_cuid_ae57f8a347dbadbb
__hip_cuid_ae57f8a347dbadbb:
	.byte	0                               ; 0x0
	.size	__hip_cuid_ae57f8a347dbadbb, 1

	.ident	"AMD clang version 19.0.0git (https://github.com/RadeonOpenCompute/llvm-project roc-6.4.0 25133 c7fe45cf4b819c5991fe208aaa96edf142730f1d)"
	.section	".note.GNU-stack","",@progbits
	.addrsig
	.addrsig_sym __hip_cuid_ae57f8a347dbadbb
	.amdgpu_metadata
---
amdhsa.kernels:
  - .agpr_count:     0
    .args:
      - .actual_access:  read_only
        .address_space:  global
        .offset:         0
        .size:           8
        .value_kind:     global_buffer
      - .offset:         8
        .size:           8
        .value_kind:     by_value
      - .actual_access:  read_only
        .address_space:  global
        .offset:         16
        .size:           8
        .value_kind:     global_buffer
      - .actual_access:  read_only
        .address_space:  global
        .offset:         24
        .size:           8
        .value_kind:     global_buffer
      - .offset:         32
        .size:           8
        .value_kind:     by_value
      - .actual_access:  read_only
        .address_space:  global
        .offset:         40
        .size:           8
        .value_kind:     global_buffer
      - .actual_access:  read_only
        .address_space:  global
        .offset:         48
        .size:           8
        .value_kind:     global_buffer
      - .offset:         56
        .size:           4
        .value_kind:     by_value
      - .actual_access:  read_only
        .address_space:  global
        .offset:         64
        .size:           8
        .value_kind:     global_buffer
      - .actual_access:  read_only
        .address_space:  global
        .offset:         72
        .size:           8
        .value_kind:     global_buffer
      - .address_space:  global
        .offset:         80
        .size:           8
        .value_kind:     global_buffer
    .group_segment_fixed_size: 0
    .kernarg_segment_align: 8
    .kernarg_segment_size: 88
    .language:       OpenCL C
    .language_version:
      - 2
      - 0
    .max_flat_workgroup_size: 132
    .name:           fft_rtc_fwd_len726_factors_11_6_11_wgs_132_tpt_66_sp_ip_CI_sbrr_dirReg
    .private_segment_fixed_size: 0
    .sgpr_count:     46
    .sgpr_spill_count: 0
    .symbol:         fft_rtc_fwd_len726_factors_11_6_11_wgs_132_tpt_66_sp_ip_CI_sbrr_dirReg.kd
    .uniform_work_group_size: 1
    .uses_dynamic_stack: false
    .vgpr_count:     118
    .vgpr_spill_count: 0
    .wavefront_size: 64
amdhsa.target:   amdgcn-amd-amdhsa--gfx950
amdhsa.version:
  - 1
  - 2
...

	.end_amdgpu_metadata
